;; amdgpu-corpus repo=ROCm/aiter kind=compiled arch=gfx906 opt=O3
	.amdgcn_target "amdgcn-amd-amdhsa--gfx906"
	.amdhsa_code_object_version 6
	.text
	.protected	_Z11mdiv_kernelPKjPjS1_N4opus4mdivEi ; -- Begin function _Z11mdiv_kernelPKjPjS1_N4opus4mdivEi
	.globl	_Z11mdiv_kernelPKjPjS1_N4opus4mdivEi
	.p2align	8
	.type	_Z11mdiv_kernelPKjPjS1_N4opus4mdivEi,@function
_Z11mdiv_kernelPKjPjS1_N4opus4mdivEi:   ; @_Z11mdiv_kernelPKjPjS1_N4opus4mdivEi
; %bb.0:
	s_load_dword s0, s[4:5], 0x24
	v_lshl_add_u32 v0, s6, 8, v0
	s_waitcnt lgkmcnt(0)
	v_cmp_gt_i32_e32 vcc, s0, v0
	s_and_saveexec_b64 s[0:1], vcc
	s_cbranch_execz .LBB0_2
; %bb.1:
	s_load_dwordx4 s[0:3], s[4:5], 0x0
	s_load_dwordx2 s[6:7], s[4:5], 0x10
	v_ashrrev_i32_e32 v1, 31, v0
	v_lshlrev_b64 v[0:1], 2, v[0:1]
	s_load_dwordx4 s[8:11], s[4:5], 0x18
	s_waitcnt lgkmcnt(0)
	v_mov_b32_e32 v3, s1
	v_add_co_u32_e32 v2, vcc, s0, v0
	v_addc_co_u32_e32 v3, vcc, v3, v1, vcc
	global_load_dword v4, v[2:3], off
	v_mov_b32_e32 v3, s3
	v_mov_b32_e32 v5, s7
	s_waitcnt vmcnt(0)
	v_mul_hi_u32 v2, v4, s9
	v_add_u32_e32 v2, v4, v2
	v_lshrrev_b32_e32 v6, s10, v2
	v_mul_lo_u32 v7, v6, s8
	v_add_co_u32_e32 v2, vcc, s2, v0
	v_addc_co_u32_e32 v3, vcc, v3, v1, vcc
	v_add_co_u32_e32 v0, vcc, s6, v0
	global_store_dword v[2:3], v6, off
	v_sub_u32_e32 v2, v4, v7
	v_addc_co_u32_e32 v1, vcc, v5, v1, vcc
	global_store_dword v[0:1], v2, off
.LBB0_2:
	s_endpgm
	.section	.rodata,"a",@progbits
	.p2align	6, 0x0
	.amdhsa_kernel _Z11mdiv_kernelPKjPjS1_N4opus4mdivEi
		.amdhsa_group_segment_fixed_size 0
		.amdhsa_private_segment_fixed_size 0
		.amdhsa_kernarg_size 40
		.amdhsa_user_sgpr_count 6
		.amdhsa_user_sgpr_private_segment_buffer 1
		.amdhsa_user_sgpr_dispatch_ptr 0
		.amdhsa_user_sgpr_queue_ptr 0
		.amdhsa_user_sgpr_kernarg_segment_ptr 1
		.amdhsa_user_sgpr_dispatch_id 0
		.amdhsa_user_sgpr_flat_scratch_init 0
		.amdhsa_user_sgpr_private_segment_size 0
		.amdhsa_uses_dynamic_stack 0
		.amdhsa_system_sgpr_private_segment_wavefront_offset 0
		.amdhsa_system_sgpr_workgroup_id_x 1
		.amdhsa_system_sgpr_workgroup_id_y 0
		.amdhsa_system_sgpr_workgroup_id_z 0
		.amdhsa_system_sgpr_workgroup_info 0
		.amdhsa_system_vgpr_workitem_id 0
		.amdhsa_next_free_vgpr 8
		.amdhsa_next_free_sgpr 12
		.amdhsa_reserve_vcc 1
		.amdhsa_reserve_flat_scratch 0
		.amdhsa_float_round_mode_32 0
		.amdhsa_float_round_mode_16_64 0
		.amdhsa_float_denorm_mode_32 3
		.amdhsa_float_denorm_mode_16_64 3
		.amdhsa_dx10_clamp 1
		.amdhsa_ieee_mode 1
		.amdhsa_fp16_overflow 0
		.amdhsa_exception_fp_ieee_invalid_op 0
		.amdhsa_exception_fp_denorm_src 0
		.amdhsa_exception_fp_ieee_div_zero 0
		.amdhsa_exception_fp_ieee_overflow 0
		.amdhsa_exception_fp_ieee_underflow 0
		.amdhsa_exception_fp_ieee_inexact 0
		.amdhsa_exception_int_div_zero 0
	.end_amdhsa_kernel
	.text
.Lfunc_end0:
	.size	_Z11mdiv_kernelPKjPjS1_N4opus4mdivEi, .Lfunc_end0-_Z11mdiv_kernelPKjPjS1_N4opus4mdivEi
                                        ; -- End function
	.set _Z11mdiv_kernelPKjPjS1_N4opus4mdivEi.num_vgpr, 8
	.set _Z11mdiv_kernelPKjPjS1_N4opus4mdivEi.num_agpr, 0
	.set _Z11mdiv_kernelPKjPjS1_N4opus4mdivEi.numbered_sgpr, 12
	.set _Z11mdiv_kernelPKjPjS1_N4opus4mdivEi.num_named_barrier, 0
	.set _Z11mdiv_kernelPKjPjS1_N4opus4mdivEi.private_seg_size, 0
	.set _Z11mdiv_kernelPKjPjS1_N4opus4mdivEi.uses_vcc, 1
	.set _Z11mdiv_kernelPKjPjS1_N4opus4mdivEi.uses_flat_scratch, 0
	.set _Z11mdiv_kernelPKjPjS1_N4opus4mdivEi.has_dyn_sized_stack, 0
	.set _Z11mdiv_kernelPKjPjS1_N4opus4mdivEi.has_recursion, 0
	.set _Z11mdiv_kernelPKjPjS1_N4opus4mdivEi.has_indirect_call, 0
	.section	.AMDGPU.csdata,"",@progbits
; Kernel info:
; codeLenInByte = 168
; TotalNumSgprs: 16
; NumVgprs: 8
; ScratchSize: 0
; MemoryBound: 0
; FloatMode: 240
; IeeeMode: 1
; LDSByteSize: 0 bytes/workgroup (compile time only)
; SGPRBlocks: 1
; VGPRBlocks: 1
; NumSGPRsForWavesPerEU: 16
; NumVGPRsForWavesPerEU: 8
; Occupancy: 10
; WaveLimiterHint : 0
; COMPUTE_PGM_RSRC2:SCRATCH_EN: 0
; COMPUTE_PGM_RSRC2:USER_SGPR: 6
; COMPUTE_PGM_RSRC2:TRAP_HANDLER: 0
; COMPUTE_PGM_RSRC2:TGID_X_EN: 1
; COMPUTE_PGM_RSRC2:TGID_Y_EN: 0
; COMPUTE_PGM_RSRC2:TGID_Z_EN: 0
; COMPUTE_PGM_RSRC2:TIDIG_COMP_CNT: 0
	.section	.AMDGPU.gpr_maximums,"",@progbits
	.set amdgpu.max_num_vgpr, 0
	.set amdgpu.max_num_agpr, 0
	.set amdgpu.max_num_sgpr, 0
	.section	.AMDGPU.csdata,"",@progbits
	.type	__hip_cuid_c93765e5537317f4,@object ; @__hip_cuid_c93765e5537317f4
	.section	.bss,"aw",@nobits
	.globl	__hip_cuid_c93765e5537317f4
__hip_cuid_c93765e5537317f4:
	.byte	0                               ; 0x0
	.size	__hip_cuid_c93765e5537317f4, 1

	.ident	"AMD clang version 22.0.0git (https://github.com/RadeonOpenCompute/llvm-project roc-7.2.4 26084 f58b06dce1f9c15707c5f808fd002e18c2accf7e)"
	.section	".note.GNU-stack","",@progbits
	.addrsig
	.addrsig_sym __hip_cuid_c93765e5537317f4
	.amdgpu_metadata
---
amdhsa.kernels:
  - .args:
      - .actual_access:  read_only
        .address_space:  global
        .offset:         0
        .size:           8
        .value_kind:     global_buffer
      - .actual_access:  write_only
        .address_space:  global
        .offset:         8
        .size:           8
        .value_kind:     global_buffer
      - .actual_access:  write_only
        .address_space:  global
        .offset:         16
        .size:           8
        .value_kind:     global_buffer
      - .offset:         24
        .size:           12
        .value_kind:     by_value
      - .offset:         36
        .size:           4
        .value_kind:     by_value
    .group_segment_fixed_size: 0
    .kernarg_segment_align: 8
    .kernarg_segment_size: 40
    .language:       OpenCL C
    .language_version:
      - 2
      - 0
    .max_flat_workgroup_size: 1024
    .name:           _Z11mdiv_kernelPKjPjS1_N4opus4mdivEi
    .private_segment_fixed_size: 0
    .sgpr_count:     16
    .sgpr_spill_count: 0
    .symbol:         _Z11mdiv_kernelPKjPjS1_N4opus4mdivEi.kd
    .uniform_work_group_size: 1
    .uses_dynamic_stack: false
    .vgpr_count:     8
    .vgpr_spill_count: 0
    .wavefront_size: 64
amdhsa.target:   amdgcn-amd-amdhsa--gfx906
amdhsa.version:
  - 1
  - 2
...

	.end_amdgpu_metadata
